;; amdgpu-corpus repo=ROCm/rocFFT kind=compiled arch=gfx1030 opt=O3
	.text
	.amdgcn_target "amdgcn-amd-amdhsa--gfx1030"
	.amdhsa_code_object_version 6
	.protected	fft_rtc_fwd_len84_factors_7_2_6_wgs_336_tpt_14_dp_op_CI_CI_sbcc_twdbase8_2step_dirReg ; -- Begin function fft_rtc_fwd_len84_factors_7_2_6_wgs_336_tpt_14_dp_op_CI_CI_sbcc_twdbase8_2step_dirReg
	.globl	fft_rtc_fwd_len84_factors_7_2_6_wgs_336_tpt_14_dp_op_CI_CI_sbcc_twdbase8_2step_dirReg
	.p2align	8
	.type	fft_rtc_fwd_len84_factors_7_2_6_wgs_336_tpt_14_dp_op_CI_CI_sbcc_twdbase8_2step_dirReg,@function
fft_rtc_fwd_len84_factors_7_2_6_wgs_336_tpt_14_dp_op_CI_CI_sbcc_twdbase8_2step_dirReg: ; @fft_rtc_fwd_len84_factors_7_2_6_wgs_336_tpt_14_dp_op_CI_CI_sbcc_twdbase8_2step_dirReg
; %bb.0:
	s_clause 0x1
	s_load_dwordx4 s[0:3], s[4:5], 0x18
	s_load_dwordx2 s[30:31], s[4:5], 0x28
	s_mov_b64 s[24:25], 0
	s_waitcnt lgkmcnt(0)
	s_load_dwordx2 s[28:29], s[0:1], 0x8
	s_waitcnt lgkmcnt(0)
	s_add_u32 s7, s28, -1
	s_addc_u32 s8, s29, -1
	s_add_u32 s9, 0, 0xaaaa0000
	s_addc_u32 s10, 0, 42
	s_mul_hi_u32 s12, s9, 0xffffffe8
	s_add_i32 s10, s10, 0xaaaaa80
	s_sub_i32 s12, s12, s9
	s_mul_i32 s14, s10, 0xffffffe8
	s_mul_i32 s11, s9, 0xffffffe8
	s_add_i32 s12, s12, s14
	s_mul_hi_u32 s13, s9, s11
	s_mul_i32 s16, s9, s12
	s_mul_hi_u32 s14, s9, s12
	s_mul_hi_u32 s15, s10, s11
	s_mul_i32 s11, s10, s11
	s_add_u32 s13, s13, s16
	s_addc_u32 s14, 0, s14
	s_mul_hi_u32 s17, s10, s12
	s_add_u32 s11, s13, s11
	s_mul_i32 s12, s10, s12
	s_addc_u32 s11, s14, s15
	s_addc_u32 s13, s17, 0
	s_add_u32 s11, s11, s12
	v_add_co_u32 v1, s9, s9, s11
	s_addc_u32 s11, 0, s13
	s_cmp_lg_u32 s9, 0
	s_addc_u32 s9, s10, s11
	v_readfirstlane_b32 s10, v1
	s_mul_i32 s12, s7, s9
	s_mul_hi_u32 s11, s7, s9
	s_mul_hi_u32 s13, s8, s9
	s_mul_i32 s9, s8, s9
	s_mul_hi_u32 s14, s7, s10
	s_mul_hi_u32 s15, s8, s10
	s_mul_i32 s10, s8, s10
	s_add_u32 s12, s14, s12
	s_addc_u32 s11, 0, s11
	s_add_u32 s10, s12, s10
	s_addc_u32 s10, s11, s15
	s_addc_u32 s11, s13, 0
	s_add_u32 s9, s10, s9
	s_addc_u32 s10, 0, s11
	s_mul_i32 s12, s9, 24
	s_add_u32 s11, s9, 1
	v_sub_co_u32 v1, s7, s7, s12
	s_mul_hi_u32 s12, s9, 24
	s_addc_u32 s13, s10, 0
	s_mul_i32 s14, s10, 24
	v_sub_co_u32 v2, s15, v1, 24
	s_add_u32 s16, s9, 2
	s_addc_u32 s17, s10, 0
	s_add_i32 s12, s12, s14
	s_cmp_lg_u32 s7, 0
	v_readfirstlane_b32 s7, v2
	s_subb_u32 s8, s8, s12
	s_cmp_lg_u32 s15, 0
	s_subb_u32 s12, s8, 0
	s_cmp_gt_u32 s7, 23
	s_cselect_b32 s7, -1, 0
	s_cmp_eq_u32 s12, 0
	v_readfirstlane_b32 s12, v1
	s_cselect_b32 s7, s7, -1
	s_cmp_lg_u32 s7, 0
	s_cselect_b32 s11, s16, s11
	s_cselect_b32 s13, s17, s13
	s_cmp_gt_u32 s12, 23
	s_cselect_b32 s7, -1, 0
	s_cmp_eq_u32 s8, 0
	s_cselect_b32 s7, s7, -1
	s_cmp_lg_u32 s7, 0
	s_mov_b32 s7, 0
	s_cselect_b32 s8, s11, s9
	s_cselect_b32 s9, s13, s10
	s_add_u32 s34, s8, 1
	s_addc_u32 s35, s9, 0
	v_cmp_lt_u64_e64 s8, s[6:7], s[34:35]
	s_and_b32 vcc_lo, exec_lo, s8
	s_cbranch_vccnz .LBB0_2
; %bb.1:
	v_cvt_f32_u32_e32 v1, s34
	s_sub_i32 s9, 0, s34
	s_mov_b32 s25, s7
	v_rcp_iflag_f32_e32 v1, v1
	v_mul_f32_e32 v1, 0x4f7ffffe, v1
	v_cvt_u32_f32_e32 v1, v1
	v_readfirstlane_b32 s8, v1
	s_mul_i32 s9, s9, s8
	s_mul_hi_u32 s9, s8, s9
	s_add_i32 s8, s8, s9
	s_mul_hi_u32 s8, s6, s8
	s_mul_i32 s9, s8, s34
	s_add_i32 s10, s8, 1
	s_sub_i32 s9, s6, s9
	s_sub_i32 s11, s9, s34
	s_cmp_ge_u32 s9, s34
	s_cselect_b32 s8, s10, s8
	s_cselect_b32 s9, s11, s9
	s_add_i32 s10, s8, 1
	s_cmp_ge_u32 s9, s34
	s_cselect_b32 s24, s10, s8
.LBB0_2:
	s_load_dwordx4 s[20:23], s[2:3], 0x0
	s_load_dwordx4 s[12:15], s[30:31], 0x0
	s_clause 0x1
	s_load_dwordx4 s[8:11], s[4:5], 0x8
	s_load_dwordx2 s[26:27], s[4:5], 0x0
	s_mul_i32 s16, s24, s35
	s_mul_hi_u32 s17, s24, s34
	s_mul_i32 s18, s24, s34
	s_add_i32 s17, s17, s16
	s_sub_u32 s48, s6, s18
	s_subb_u32 s16, 0, s17
	s_mul_hi_u32 s33, s48, 24
	s_mul_i32 s36, s16, 24
	s_load_dwordx4 s[16:19], s[4:5], 0x60
	s_add_i32 s33, s33, s36
	s_mul_i32 s48, s48, 24
	s_waitcnt lgkmcnt(0)
	s_mul_i32 s4, s22, s33
	s_mul_hi_u32 s5, s22, s48
	v_cmp_lt_u64_e64 s40, s[10:11], 3
	s_mul_i32 s37, s14, s33
	s_mul_hi_u32 s38, s14, s48
	s_mul_i32 s36, s23, s48
	s_mul_i32 s39, s15, s48
	s_add_i32 s4, s5, s4
	s_add_i32 s5, s38, s37
	;; [unrolled: 1-line block ×3, first 2 shown]
	s_mul_i32 s50, s22, s48
	s_add_i32 s5, s5, s39
	s_and_b32 vcc_lo, exec_lo, s40
	s_mul_i32 s4, s14, s48
	s_cbranch_vccnz .LBB0_12
; %bb.3:
	s_add_u32 s36, s30, 16
	s_addc_u32 s37, s31, 0
	s_add_u32 s38, s2, 16
	s_addc_u32 s39, s3, 0
	;; [unrolled: 2-line block ×3, first 2 shown]
	s_mov_b64 s[40:41], 2
	s_mov_b32 s42, 0
.LBB0_4:                                ; =>This Inner Loop Header: Depth=1
	s_load_dwordx2 s[44:45], s[0:1], 0x0
	s_waitcnt lgkmcnt(0)
	s_or_b64 s[46:47], s[24:25], s[44:45]
	s_mov_b32 s43, s47
                                        ; implicit-def: $sgpr46_sgpr47
	s_cmp_lg_u64 s[42:43], 0
	s_mov_b32 s43, -1
	s_cbranch_scc0 .LBB0_6
; %bb.5:                                ;   in Loop: Header=BB0_4 Depth=1
	v_cvt_f32_u32_e32 v1, s44
	v_cvt_f32_u32_e32 v2, s45
	s_sub_u32 s47, 0, s44
	s_subb_u32 s51, 0, s45
	v_fmac_f32_e32 v1, 0x4f800000, v2
	v_rcp_f32_e32 v1, v1
	v_mul_f32_e32 v1, 0x5f7ffffc, v1
	v_mul_f32_e32 v2, 0x2f800000, v1
	v_trunc_f32_e32 v2, v2
	v_fmac_f32_e32 v1, 0xcf800000, v2
	v_cvt_u32_f32_e32 v2, v2
	v_cvt_u32_f32_e32 v1, v1
	v_readfirstlane_b32 s43, v2
	v_readfirstlane_b32 s46, v1
	s_mul_i32 s52, s47, s43
	s_mul_hi_u32 s54, s47, s46
	s_mul_i32 s53, s51, s46
	s_add_i32 s52, s54, s52
	s_mul_i32 s55, s47, s46
	s_add_i32 s52, s52, s53
	s_mul_hi_u32 s54, s46, s55
	s_mul_hi_u32 s56, s43, s55
	s_mul_i32 s53, s43, s55
	s_mul_hi_u32 s55, s46, s52
	s_mul_i32 s46, s46, s52
	s_mul_hi_u32 s57, s43, s52
	s_add_u32 s46, s54, s46
	s_addc_u32 s54, 0, s55
	s_add_u32 s46, s46, s53
	s_mul_i32 s52, s43, s52
	s_addc_u32 s46, s54, s56
	s_addc_u32 s53, s57, 0
	s_add_u32 s46, s46, s52
	s_addc_u32 s52, 0, s53
	v_add_co_u32 v1, s46, v1, s46
	s_cmp_lg_u32 s46, 0
	s_addc_u32 s43, s43, s52
	v_readfirstlane_b32 s46, v1
	s_mul_i32 s52, s47, s43
	s_mul_hi_u32 s53, s47, s46
	s_mul_i32 s51, s51, s46
	s_add_i32 s52, s53, s52
	s_mul_i32 s47, s47, s46
	s_add_i32 s52, s52, s51
	s_mul_hi_u32 s53, s43, s47
	s_mul_i32 s54, s43, s47
	s_mul_hi_u32 s47, s46, s47
	s_mul_hi_u32 s55, s46, s52
	s_mul_i32 s46, s46, s52
	s_mul_hi_u32 s51, s43, s52
	s_add_u32 s46, s47, s46
	s_addc_u32 s47, 0, s55
	s_add_u32 s46, s46, s54
	s_mul_i32 s52, s43, s52
	s_addc_u32 s46, s47, s53
	s_addc_u32 s47, s51, 0
	s_add_u32 s46, s46, s52
	s_addc_u32 s47, 0, s47
	v_add_co_u32 v1, s46, v1, s46
	s_cmp_lg_u32 s46, 0
	s_addc_u32 s43, s43, s47
	v_readfirstlane_b32 s46, v1
	s_mul_i32 s51, s24, s43
	s_mul_hi_u32 s47, s24, s43
	s_mul_hi_u32 s52, s25, s43
	s_mul_i32 s43, s25, s43
	s_mul_hi_u32 s53, s24, s46
	s_mul_hi_u32 s54, s25, s46
	s_mul_i32 s46, s25, s46
	s_add_u32 s51, s53, s51
	s_addc_u32 s47, 0, s47
	s_add_u32 s46, s51, s46
	s_addc_u32 s46, s47, s54
	s_addc_u32 s47, s52, 0
	s_add_u32 s46, s46, s43
	s_addc_u32 s47, 0, s47
	s_mul_hi_u32 s43, s44, s46
	s_mul_i32 s52, s44, s47
	s_mul_i32 s53, s44, s46
	s_add_i32 s43, s43, s52
	v_sub_co_u32 v1, s52, s24, s53
	s_mul_i32 s51, s45, s46
	s_add_i32 s43, s43, s51
	v_sub_co_u32 v2, s53, v1, s44
	s_sub_i32 s51, s25, s43
	s_cmp_lg_u32 s52, 0
	s_subb_u32 s51, s51, s45
	s_cmp_lg_u32 s53, 0
	v_readfirstlane_b32 s53, v2
	s_subb_u32 s51, s51, 0
	s_cmp_ge_u32 s51, s45
	s_cselect_b32 s54, -1, 0
	s_cmp_ge_u32 s53, s44
	s_cselect_b32 s53, -1, 0
	s_cmp_eq_u32 s51, s45
	s_cselect_b32 s51, s53, s54
	s_add_u32 s53, s46, 1
	s_addc_u32 s54, s47, 0
	s_add_u32 s55, s46, 2
	s_addc_u32 s56, s47, 0
	s_cmp_lg_u32 s51, 0
	s_cselect_b32 s51, s55, s53
	s_cselect_b32 s53, s56, s54
	s_cmp_lg_u32 s52, 0
	v_readfirstlane_b32 s52, v1
	s_subb_u32 s43, s25, s43
	s_cmp_ge_u32 s43, s45
	s_cselect_b32 s54, -1, 0
	s_cmp_ge_u32 s52, s44
	s_cselect_b32 s52, -1, 0
	s_cmp_eq_u32 s43, s45
	s_cselect_b32 s43, s52, s54
	s_cmp_lg_u32 s43, 0
	s_mov_b32 s43, 0
	s_cselect_b32 s47, s53, s47
	s_cselect_b32 s46, s51, s46
.LBB0_6:                                ;   in Loop: Header=BB0_4 Depth=1
	s_andn2_b32 vcc_lo, exec_lo, s43
	s_cbranch_vccnz .LBB0_8
; %bb.7:                                ;   in Loop: Header=BB0_4 Depth=1
	v_cvt_f32_u32_e32 v1, s44
	s_sub_i32 s46, 0, s44
	v_rcp_iflag_f32_e32 v1, v1
	v_mul_f32_e32 v1, 0x4f7ffffe, v1
	v_cvt_u32_f32_e32 v1, v1
	v_readfirstlane_b32 s43, v1
	s_mul_i32 s46, s46, s43
	s_mul_hi_u32 s46, s43, s46
	s_add_i32 s43, s43, s46
	s_mul_hi_u32 s43, s24, s43
	s_mul_i32 s46, s43, s44
	s_add_i32 s47, s43, 1
	s_sub_i32 s46, s24, s46
	s_sub_i32 s51, s46, s44
	s_cmp_ge_u32 s46, s44
	s_cselect_b32 s43, s47, s43
	s_cselect_b32 s46, s51, s46
	s_add_i32 s47, s43, 1
	s_cmp_ge_u32 s46, s44
	s_cselect_b32 s46, s47, s43
	s_mov_b32 s47, s42
.LBB0_8:                                ;   in Loop: Header=BB0_4 Depth=1
	s_load_dwordx2 s[52:53], s[38:39], 0x0
	s_load_dwordx2 s[54:55], s[36:37], 0x0
	s_mul_i32 s35, s44, s35
	s_mul_hi_u32 s43, s44, s34
	s_mul_i32 s51, s45, s34
	s_mul_i32 s45, s46, s45
	s_mul_hi_u32 s56, s46, s44
	s_mul_i32 s57, s47, s44
	s_add_i32 s35, s43, s35
	s_add_i32 s43, s56, s45
	s_mul_i32 s58, s46, s44
	s_add_i32 s35, s35, s51
	s_add_i32 s43, s43, s57
	s_sub_u32 s24, s24, s58
	s_subb_u32 s25, s25, s43
	s_mul_i32 s34, s44, s34
	s_waitcnt lgkmcnt(0)
	s_mul_i32 s43, s52, s25
	s_mul_hi_u32 s45, s52, s24
	s_mul_i32 s51, s53, s24
	s_add_i32 s43, s45, s43
	s_mul_i32 s52, s52, s24
	s_mul_i32 s25, s54, s25
	s_mul_hi_u32 s45, s54, s24
	s_add_i32 s43, s43, s51
	s_add_u32 s50, s52, s50
	s_addc_u32 s49, s43, s49
	s_add_i32 s25, s45, s25
	s_mul_i32 s43, s55, s24
	s_mul_i32 s24, s54, s24
	s_add_i32 s25, s25, s43
	s_add_u32 s4, s24, s4
	s_addc_u32 s5, s25, s5
	s_add_u32 s40, s40, 1
	s_addc_u32 s41, s41, 0
	s_add_u32 s36, s36, 8
	v_cmp_ge_u64_e64 s24, s[40:41], s[10:11]
	s_addc_u32 s37, s37, 0
	s_add_u32 s38, s38, 8
	s_addc_u32 s39, s39, 0
	s_add_u32 s0, s0, 8
	s_addc_u32 s1, s1, 0
	s_and_b32 vcc_lo, exec_lo, s24
	s_cbranch_vccnz .LBB0_10
; %bb.9:                                ;   in Loop: Header=BB0_4 Depth=1
	s_mov_b64 s[24:25], s[46:47]
	s_branch .LBB0_4
.LBB0_10:
	v_cmp_lt_u64_e64 s0, s[6:7], s[34:35]
	s_mov_b64 s[24:25], 0
	s_and_b32 vcc_lo, exec_lo, s0
	s_cbranch_vccnz .LBB0_12
; %bb.11:
	v_cvt_f32_u32_e32 v1, s34
	s_sub_i32 s1, 0, s34
	v_rcp_iflag_f32_e32 v1, v1
	v_mul_f32_e32 v1, 0x4f7ffffe, v1
	v_cvt_u32_f32_e32 v1, v1
	v_readfirstlane_b32 s0, v1
	s_mul_i32 s1, s1, s0
	s_mul_hi_u32 s1, s0, s1
	s_add_i32 s0, s0, s1
	s_mul_hi_u32 s0, s6, s0
	s_mul_i32 s1, s0, s34
	s_sub_i32 s1, s6, s1
	s_add_i32 s6, s0, 1
	s_sub_i32 s7, s1, s34
	s_cmp_ge_u32 s1, s34
	s_cselect_b32 s0, s6, s0
	s_cselect_b32 s1, s7, s1
	s_add_i32 s6, s0, 1
	s_cmp_ge_u32 s1, s34
	s_cselect_b32 s24, s6, s0
.LBB0_12:
	s_lshl_b64 s[10:11], s[10:11], 3
	v_mul_u32_u24_e32 v1, 0xaab, v0
	s_add_u32 s0, s2, s10
	s_addc_u32 s1, s3, s11
                                        ; implicit-def: $vgpr27_vgpr28
                                        ; implicit-def: $vgpr23_vgpr24
                                        ; implicit-def: $vgpr15_vgpr16
                                        ; implicit-def: $vgpr11_vgpr12
                                        ; implicit-def: $vgpr19_vgpr20
                                        ; implicit-def: $vgpr7_vgpr8
	s_load_dwordx2 s[2:3], s[0:1], 0x0
	v_lshrrev_b32_e32 v32, 16, v1
	v_cmp_gt_u32_e64 s0, 0x120, v0
                                        ; kill: def $vgpr1_vgpr2 killed $sgpr0_sgpr1 killed $exec
	v_mul_lo_u16 v3, v32, 24
	v_add_nc_u32_e32 v39, 12, v32
	v_add_nc_u32_e32 v38, 24, v32
	;; [unrolled: 1-line block ×4, first 2 shown]
	v_sub_nc_u16 v33, v0, v3
	v_add_nc_u32_e32 v35, 60, v32
	v_add_nc_u32_e32 v34, 0x48, v32
                                        ; implicit-def: $vgpr3_vgpr4
	v_and_b32_e32 v31, 0xffff, v33
	s_waitcnt lgkmcnt(0)
	s_mul_i32 s1, s3, s24
	s_mul_hi_u32 s3, s2, s24
	s_mul_i32 s2, s2, s24
	s_add_i32 s3, s3, s1
	s_add_u32 s6, s2, s50
	s_addc_u32 s7, s3, s49
	s_add_u32 s2, s30, s10
	s_addc_u32 s3, s31, s11
	;; [unrolled: 2-line block ×3, first 2 shown]
	v_cmp_le_u64_e64 s10, s[10:11], s[28:29]
	s_and_b32 s11, s0, s10
	s_and_saveexec_b32 s1, s11
	s_cbranch_execz .LBB0_14
; %bb.13:
	v_mad_u64_u32 v[1:2], null, s22, v31, 0
	v_mad_u64_u32 v[3:4], null, s20, v32, 0
	;; [unrolled: 1-line block ×3, first 2 shown]
	s_lshl_b64 s[30:31], s[6:7], 4
	v_mad_u64_u32 v[9:10], null, s20, v38, 0
	s_add_u32 s11, s16, s30
	v_mad_u64_u32 v[7:8], null, s23, v31, v[2:3]
	v_mad_u64_u32 v[11:12], null, s21, v32, v[4:5]
	s_addc_u32 s25, s17, s31
	v_mad_u64_u32 v[15:16], null, s20, v35, 0
	v_mad_u64_u32 v[12:13], null, s21, v39, v[6:7]
	v_mov_b32_e32 v2, v7
	v_mov_b32_e32 v4, v11
	v_mad_u64_u32 v[13:14], null, s20, v37, 0
	v_mov_b32_e32 v7, v10
	v_lshlrev_b64 v[1:2], 4, v[1:2]
	v_mov_b32_e32 v6, v12
	v_lshlrev_b64 v[3:4], 4, v[3:4]
	v_mad_u64_u32 v[11:12], null, s20, v36, 0
	v_mad_u64_u32 v[7:8], null, s21, v38, v[7:8]
	v_add_co_u32 v23, vcc_lo, s11, v1
	v_lshlrev_b64 v[5:6], 4, v[5:6]
	v_add_co_ci_u32_e32 v24, vcc_lo, s25, v2, vcc_lo
	v_add_co_u32 v1, vcc_lo, v23, v3
	v_mov_b32_e32 v3, v12
	v_add_co_ci_u32_e32 v2, vcc_lo, v24, v4, vcc_lo
	v_mov_b32_e32 v4, v14
	v_add_co_u32 v5, vcc_lo, v23, v5
	v_mov_b32_e32 v10, v7
	v_add_co_ci_u32_e32 v6, vcc_lo, v24, v6, vcc_lo
	v_mad_u64_u32 v[17:18], null, s21, v36, v[3:4]
	v_mad_u64_u32 v[18:19], null, s21, v37, v[4:5]
	v_mad_u64_u32 v[19:20], null, s20, v34, 0
	v_lshlrev_b64 v[9:10], 4, v[9:10]
	s_clause 0x1
	global_load_dwordx4 v[1:4], v[1:2], off
	global_load_dwordx4 v[5:8], v[5:6], off
	v_mov_b32_e32 v12, v17
	v_mad_u64_u32 v[16:17], null, s21, v35, v[16:17]
	v_mov_b32_e32 v14, v18
	v_mov_b32_e32 v17, v20
	v_lshlrev_b64 v[11:12], 4, v[11:12]
	v_add_co_u32 v9, vcc_lo, v23, v9
	v_lshlrev_b64 v[13:14], 4, v[13:14]
	v_mad_u64_u32 v[17:18], null, s21, v34, v[17:18]
	v_add_co_ci_u32_e32 v10, vcc_lo, v24, v10, vcc_lo
	v_add_co_u32 v11, vcc_lo, v23, v11
	v_lshlrev_b64 v[15:16], 4, v[15:16]
	v_add_co_ci_u32_e32 v12, vcc_lo, v24, v12, vcc_lo
	v_mov_b32_e32 v20, v17
	v_add_co_u32 v13, vcc_lo, v23, v13
	v_add_co_ci_u32_e32 v14, vcc_lo, v24, v14, vcc_lo
	v_lshlrev_b64 v[17:18], 4, v[19:20]
	v_add_co_u32 v21, vcc_lo, v23, v15
	v_add_co_ci_u32_e32 v22, vcc_lo, v24, v16, vcc_lo
	v_add_co_u32 v25, vcc_lo, v23, v17
	v_add_co_ci_u32_e32 v26, vcc_lo, v24, v18, vcc_lo
	s_clause 0x4
	global_load_dwordx4 v[17:20], v[9:10], off
	global_load_dwordx4 v[9:12], v[11:12], off
	global_load_dwordx4 v[13:16], v[13:14], off
	global_load_dwordx4 v[21:24], v[21:22], off
	global_load_dwordx4 v[25:28], v[25:26], off
.LBB0_14:
	s_or_b32 exec_lo, exec_lo, s1
	v_add_co_u32 v29, s1, s48, v31
	v_add_co_ci_u32_e64 v30, null, s33, 0, s1
	s_xor_b32 s1, s10, -1
	v_cmp_gt_u64_e32 vcc_lo, s[28:29], v[29:30]
	s_and_b32 s11, s0, vcc_lo
	s_and_b32 s1, s1, s11
	s_and_saveexec_b32 s11, s1
	s_cbranch_execz .LBB0_16
; %bb.15:
	s_waitcnt vmcnt(6)
	v_mad_u64_u32 v[1:2], null, s22, v31, 0
	v_mad_u64_u32 v[3:4], null, s20, v32, 0
	s_waitcnt vmcnt(5)
	v_mad_u64_u32 v[5:6], null, s20, v39, 0
	s_lshl_b64 s[6:7], s[6:7], 4
	s_waitcnt vmcnt(3)
	v_mad_u64_u32 v[9:10], null, s20, v38, 0
	s_add_u32 s1, s16, s6
	v_mad_u64_u32 v[7:8], null, s23, v31, v[2:3]
	v_mad_u64_u32 v[11:12], null, s21, v32, v[4:5]
	s_addc_u32 s6, s17, s7
	s_waitcnt vmcnt(2)
	v_mad_u64_u32 v[15:16], null, s20, v35, 0
	v_mad_u64_u32 v[12:13], null, s21, v39, v[6:7]
	v_mov_b32_e32 v2, v7
	v_mov_b32_e32 v4, v11
	v_mad_u64_u32 v[13:14], null, s20, v37, 0
	v_mov_b32_e32 v7, v10
	v_lshlrev_b64 v[1:2], 4, v[1:2]
	v_mov_b32_e32 v6, v12
	v_lshlrev_b64 v[3:4], 4, v[3:4]
	v_mad_u64_u32 v[11:12], null, s20, v36, 0
	v_mad_u64_u32 v[7:8], null, s21, v38, v[7:8]
	s_waitcnt vmcnt(1)
	v_add_co_u32 v23, s1, s1, v1
	v_lshlrev_b64 v[5:6], 4, v[5:6]
	v_add_co_ci_u32_e64 v24, s1, s6, v2, s1
	v_add_co_u32 v1, s1, v23, v3
	v_mov_b32_e32 v3, v12
	v_add_co_ci_u32_e64 v2, s1, v24, v4, s1
	v_mov_b32_e32 v4, v14
	v_add_co_u32 v5, s1, v23, v5
	v_mov_b32_e32 v10, v7
	v_add_co_ci_u32_e64 v6, s1, v24, v6, s1
	v_mad_u64_u32 v[17:18], null, s21, v36, v[3:4]
	v_mad_u64_u32 v[18:19], null, s21, v37, v[4:5]
	;; [unrolled: 1-line block ×3, first 2 shown]
	v_lshlrev_b64 v[9:10], 4, v[9:10]
	s_clause 0x1
	global_load_dwordx4 v[1:4], v[1:2], off
	global_load_dwordx4 v[5:8], v[5:6], off
	v_mov_b32_e32 v12, v17
	v_mad_u64_u32 v[16:17], null, s21, v35, v[16:17]
	v_mov_b32_e32 v14, v18
	v_mov_b32_e32 v17, v20
	v_lshlrev_b64 v[11:12], 4, v[11:12]
	v_add_co_u32 v9, s1, v23, v9
	v_lshlrev_b64 v[13:14], 4, v[13:14]
	v_mad_u64_u32 v[17:18], null, s21, v34, v[17:18]
	v_add_co_ci_u32_e64 v10, s1, v24, v10, s1
	v_add_co_u32 v11, s1, v23, v11
	v_lshlrev_b64 v[15:16], 4, v[15:16]
	v_add_co_ci_u32_e64 v12, s1, v24, v12, s1
	v_mov_b32_e32 v20, v17
	v_add_co_u32 v13, s1, v23, v13
	v_add_co_ci_u32_e64 v14, s1, v24, v14, s1
	v_lshlrev_b64 v[17:18], 4, v[19:20]
	v_add_co_u32 v21, s1, v23, v15
	v_add_co_ci_u32_e64 v22, s1, v24, v16, s1
	s_waitcnt vmcnt(2)
	v_add_co_u32 v25, s1, v23, v17
	v_add_co_ci_u32_e64 v26, s1, v24, v18, s1
	s_clause 0x4
	global_load_dwordx4 v[17:20], v[9:10], off
	global_load_dwordx4 v[9:12], v[11:12], off
	;; [unrolled: 1-line block ×5, first 2 shown]
.LBB0_16:
	s_or_b32 exec_lo, exec_lo, s11
	s_and_saveexec_b32 s1, s0
	s_cbranch_execz .LBB0_18
; %bb.17:
	s_waitcnt vmcnt(0)
	v_add_f64 v[34:35], v[27:28], v[7:8]
	v_add_f64 v[36:37], v[23:24], v[19:20]
	;; [unrolled: 1-line block ×4, first 2 shown]
	v_add_f64 v[42:43], v[13:14], -v[9:10]
	v_add_f64 v[17:18], v[17:18], -v[21:22]
	v_add_f64 v[21:22], v[15:16], v[11:12]
	v_add_f64 v[11:12], v[15:16], -v[11:12]
	v_add_f64 v[15:16], v[19:20], -v[23:24]
	v_add_f64 v[9:10], v[13:14], v[9:10]
	v_add_f64 v[5:6], v[5:6], -v[25:26]
	v_add_f64 v[7:8], v[7:8], -v[27:28]
	s_mov_b32 s6, 0xe976ee23
	s_mov_b32 s7, 0xbfe11646
	;; [unrolled: 1-line block ×10, first 2 shown]
	v_mov_b32_e32 v30, 4
	v_add_f64 v[13:14], v[36:37], v[34:35]
	v_add_f64 v[19:20], v[40:41], v[38:39]
	v_add_f64 v[23:24], v[42:43], -v[17:18]
	v_add_f64 v[25:26], v[34:35], -v[21:22]
	;; [unrolled: 1-line block ×8, first 2 shown]
	v_add_f64 v[17:18], v[42:43], v[17:18]
	v_add_f64 v[42:43], v[7:8], -v[11:12]
	v_add_f64 v[11:12], v[11:12], v[15:16]
	v_lshlrev_b32_sdwa v30, v30, v33 dst_sel:DWORD dst_unused:UNUSED_PAD src0_sel:DWORD src1_sel:WORD_0
	v_add_f64 v[13:14], v[21:22], v[13:14]
	v_add_f64 v[21:22], v[21:22], -v[36:37]
	v_add_f64 v[19:20], v[9:10], v[19:20]
	v_add_f64 v[9:10], v[9:10], -v[40:41]
	v_mul_f64 v[23:24], v[23:24], s[6:7]
	v_mul_f64 v[25:26], v[25:26], s[16:17]
	v_add_f64 v[36:37], v[40:41], -v[38:39]
	v_mul_f64 v[27:28], v[27:28], s[6:7]
	s_mov_b32 s6, 0x36b3c0b5
	v_mul_f64 v[38:39], v[44:45], s[16:17]
	s_mov_b32 s7, 0x3fac98ee
	v_mul_f64 v[40:41], v[46:47], s[20:21]
	v_mul_f64 v[44:45], v[48:49], s[20:21]
	s_mov_b32 s17, 0x3fd5d0dc
	s_mov_b32 s16, 0xb247c609
	v_add_f64 v[5:6], v[17:18], v[5:6]
	v_add_f64 v[7:8], v[11:12], v[7:8]
	;; [unrolled: 1-line block ×3, first 2 shown]
	v_mul_f64 v[15:16], v[21:22], s[6:7]
	v_add_f64 v[1:2], v[1:2], v[19:20]
	v_mul_f64 v[52:53], v[9:10], s[6:7]
	v_fma_f64 v[17:18], v[50:51], s[16:17], v[23:24]
	v_fma_f64 v[21:22], v[21:22], s[6:7], v[25:26]
	v_fma_f64 v[25:26], v[34:35], s[28:29], -v[25:26]
	v_fma_f64 v[54:55], v[42:43], s[16:17], v[27:28]
	s_mov_b32 s17, 0xbfd5d0dc
	v_fma_f64 v[56:57], v[36:37], s[28:29], -v[38:39]
	s_mov_b32 s29, 0x3fe77f67
	v_fma_f64 v[23:24], v[46:47], s[20:21], -v[23:24]
	v_fma_f64 v[40:41], v[50:51], s[16:17], -v[40:41]
	v_fma_f64 v[9:10], v[9:10], s[6:7], v[38:39]
	s_mov_b32 s6, 0x37c3f68c
	s_mov_b32 s7, 0x3fdc38aa
	v_fma_f64 v[13:14], v[13:14], s[22:23], v[3:4]
	v_fma_f64 v[11:12], v[34:35], s[28:29], -v[15:16]
	v_fma_f64 v[19:20], v[19:20], s[22:23], v[1:2]
	v_fma_f64 v[15:16], v[48:49], s[20:21], -v[27:28]
	v_fma_f64 v[27:28], v[42:43], s[16:17], -v[44:45]
	;; [unrolled: 1-line block ×3, first 2 shown]
	v_fma_f64 v[17:18], v[5:6], s[6:7], v[17:18]
	v_fma_f64 v[36:37], v[7:8], s[6:7], v[54:55]
	v_fma_f64 v[23:24], v[5:6], s[6:7], v[23:24]
	v_fma_f64 v[5:6], v[5:6], s[6:7], v[40:41]
	v_add_f64 v[21:22], v[21:22], v[13:14]
	v_add_f64 v[25:26], v[25:26], v[13:14]
	v_add_f64 v[13:14], v[11:12], v[13:14]
	v_add_f64 v[42:43], v[9:10], v[19:20]
	v_fma_f64 v[40:41], v[7:8], s[6:7], v[27:28]
	v_add_f64 v[9:10], v[56:57], v[19:20]
	v_fma_f64 v[38:39], v[7:8], s[6:7], v[15:16]
	v_add_f64 v[34:35], v[34:35], v[19:20]
	v_add_f64 v[27:28], v[21:22], -v[17:18]
	v_add_f64 v[11:12], v[5:6], v[25:26]
	v_add_f64 v[15:16], v[13:14], -v[23:24]
	;; [unrolled: 2-line block ×3, first 2 shown]
	v_add_f64 v[25:26], v[36:37], v[42:43]
	v_add_f64 v[7:8], v[17:18], v[21:22]
	;; [unrolled: 1-line block ×3, first 2 shown]
	v_add_f64 v[17:18], v[34:35], -v[38:39]
	v_add_f64 v[13:14], v[38:39], v[34:35]
	v_add_f64 v[9:10], v[9:10], -v[40:41]
	v_add_f64 v[5:6], v[42:43], -v[36:37]
	v_mul_u32_u24_e32 v34, 0xa80, v32
	v_add3_u32 v30, 0, v34, v30
	ds_write_b128 v30, v[1:4]
	ds_write_b128 v30, v[25:28] offset:384
	ds_write_b128 v30, v[21:24] offset:768
	;; [unrolled: 1-line block ×6, first 2 shown]
.LBB0_18:
	s_or_b32 exec_lo, exec_lo, s1
	s_waitcnt vmcnt(6)
	v_mad_u16 v1, v32, 37, 0x206
	v_mad_u16 v2, v32, 37, 0x40c
	s_waitcnt vmcnt(2)
	v_mov_b32_e32 v13, 4
	s_load_dwordx2 s[0:1], s[2:3], 0x0
	s_waitcnt vmcnt(0) lgkmcnt(0)
	v_lshrrev_b16 v12, 8, v1
	v_lshrrev_b16 v14, 8, v2
	v_mul_lo_u16 v1, v32, 37
	s_barrier
	buffer_gl0_inv
	v_mul_lo_u16 v2, v12, 7
	v_mul_lo_u16 v3, v14, 7
	v_lshrrev_b16 v28, 8, v1
	v_lshlrev_b32_sdwa v55, v13, v33 dst_sel:DWORD dst_unused:UNUSED_PAD src0_sel:DWORD src1_sel:WORD_0
	v_and_b32_e32 v12, 0xffff, v12
	v_sub_nc_u16 v2, v32, v2
	v_sub_nc_u16 v3, v32, v3
	v_mul_lo_u16 v4, v28, 7
	s_or_b32 s2, s10, vcc_lo
	v_add_nc_u16 v2, v2, 14
	v_add_nc_u16 v3, v3, 28
	v_sub_nc_u16 v30, v32, v4
	v_and_b32_e32 v53, 0xff, v2
	v_and_b32_e32 v54, 0xff, v3
	v_lshlrev_b32_sdwa v2, v13, v30 dst_sel:DWORD dst_unused:UNUSED_PAD src0_sel:DWORD src1_sel:BYTE_0
	v_lshlrev_b32_e32 v6, 4, v53
	v_lshlrev_b32_e32 v10, 4, v54
	v_mad_u32_u24 v12, v12, 14, v53
	s_clause 0x2
	global_load_dwordx4 v[2:5], v2, s[26:27]
	global_load_dwordx4 v[6:9], v6, s[26:27]
	;; [unrolled: 1-line block ×3, first 2 shown]
	v_mul_u32_u24_e32 v10, 0x180, v32
	v_mul_u32_u24_e32 v12, 0x180, v12
	v_add3_u32 v15, 0, v10, v55
	ds_read_b128 v[20:23], v15 offset:16128
	ds_read_b128 v[24:27], v15 offset:21504
	;; [unrolled: 1-line block ×4, first 2 shown]
	v_add3_u32 v12, 0, v12, v55
	s_waitcnt vmcnt(2) lgkmcnt(3)
	v_mul_f64 v[45:46], v[22:23], v[4:5]
	v_mul_f64 v[4:5], v[20:21], v[4:5]
	s_waitcnt vmcnt(1) lgkmcnt(2)
	v_mul_f64 v[47:48], v[26:27], v[8:9]
	v_mul_f64 v[49:50], v[24:25], v[8:9]
	s_waitcnt vmcnt(0) lgkmcnt(1)
	v_mul_f64 v[51:52], v[35:36], v[18:19]
	v_mul_f64 v[18:19], v[33:34], v[18:19]
	ds_read_b128 v[8:11], v15
	ds_read_b128 v[41:44], v15 offset:5376
	s_waitcnt lgkmcnt(0)
	s_barrier
	buffer_gl0_inv
	v_fma_f64 v[20:21], v[20:21], v[2:3], -v[45:46]
	v_fma_f64 v[4:5], v[22:23], v[2:3], v[4:5]
	v_fma_f64 v[22:23], v[24:25], v[6:7], -v[47:48]
	v_fma_f64 v[6:7], v[26:27], v[6:7], v[49:50]
	;; [unrolled: 2-line block ×3, first 2 shown]
	v_mov_b32_e32 v45, 0x180
	v_add_f64 v[2:3], v[8:9], -v[20:21]
	v_add_f64 v[4:5], v[10:11], -v[4:5]
	;; [unrolled: 1-line block ×6, first 2 shown]
	v_fma_f64 v[6:7], v[8:9], 2.0, -v[2:3]
	v_fma_f64 v[8:9], v[10:11], 2.0, -v[4:5]
	;; [unrolled: 1-line block ×6, first 2 shown]
	v_and_b32_e32 v11, 0xffff, v14
	v_mad_u16 v10, v28, 14, v30
	v_mad_u32_u24 v11, v11, 14, v54
	v_mul_u32_u24_sdwa v10, v10, v45 dst_sel:DWORD dst_unused:UNUSED_PAD src0_sel:BYTE_0 src1_sel:DWORD
	v_mul_u32_u24_e32 v11, 0x180, v11
	v_add3_u32 v10, 0, v10, v55
	v_add3_u32 v11, 0, v11, v55
	ds_write_b128 v10, v[2:5] offset:2688
	ds_write_b128 v10, v[6:9]
	ds_write_b128 v12, v[16:19] offset:2688
	ds_write_b128 v12, v[24:27]
	ds_write_b128 v11, v[33:36]
	ds_write_b128 v11, v[20:23] offset:2688
	s_waitcnt lgkmcnt(0)
	s_barrier
	buffer_gl0_inv
	s_and_saveexec_b32 s3, s2
	s_cbranch_execz .LBB0_20
; %bb.19:
	v_lshrrev_b16 v1, 9, v1
	v_add_nc_u32_e32 v24, 0x2a00, v15
	v_add_nc_u32_e32 v30, 0x1500, v15
	s_mul_i32 s1, s1, s24
	s_mul_hi_u32 s2, s0, s24
	v_mul_lo_u16 v1, v1, 14
	s_mul_i32 s0, s0, s24
	s_add_i32 s1, s2, s1
	s_lshl_b64 s[0:1], s[0:1], 4
	v_sub_nc_u16 v1, v32, v1
	s_add_u32 s2, s18, s0
	s_addc_u32 s3, s19, s1
	s_lshl_b64 s[0:1], s[4:5], 4
	s_add_u32 s0, s2, s0
	v_and_b32_e32 v14, 0xff, v1
	s_addc_u32 s1, s3, s1
	s_mov_b32 s3, 0xbfebb67a
	v_mul_u32_u24_e32 v1, 5, v14
	v_mul_lo_u32 v28, v29, v14
	v_add_nc_u32_e32 v72, 28, v14
	v_lshlrev_b32_e32 v20, 4, v1
	s_clause 0x4
	global_load_dwordx4 v[9:12], v20, s[26:27] offset:128
	global_load_dwordx4 v[5:8], v20, s[26:27] offset:160
	;; [unrolled: 1-line block ×5, first 2 shown]
	ds_read_b128 v[24:27], v24
	ds_read_b128 v[32:35], v15 offset:21504
	v_bfe_u32 v44, v28, 8, 8
	ds_read_b128 v[36:39], v15 offset:16128
	ds_read_b128 v[40:43], v30
	v_add_nc_u32_e32 v30, 0x46, v14
	v_lshlrev_b32_sdwa v28, v13, v28 dst_sel:DWORD dst_unused:UNUSED_PAD src0_sel:DWORD src1_sel:BYTE_0
	v_lshl_or_b32 v48, v44, 4, 0x1000
	s_clause 0x1
	global_load_dwordx4 v[44:47], v28, s[8:9]
	global_load_dwordx4 v[48:51], v48, s[8:9]
	v_mul_lo_u32 v28, v29, v30
	ds_read_b128 v[52:55], v15 offset:26880
	ds_read_b128 v[56:59], v15
	v_add_nc_u32_e32 v15, 56, v14
	v_bfe_u32 v30, v28, 8, 8
	v_mul_lo_u32 v15, v29, v15
	s_waitcnt vmcnt(6) lgkmcnt(5)
	v_mul_f64 v[60:61], v[26:27], v[11:12]
	v_mul_f64 v[11:12], v[24:25], v[11:12]
	s_waitcnt vmcnt(5) lgkmcnt(4)
	v_mul_f64 v[62:63], v[34:35], v[7:8]
	v_mul_f64 v[64:65], v[32:33], v[7:8]
	v_lshlrev_b32_sdwa v7, v13, v28 dst_sel:DWORD dst_unused:UNUSED_PAD src0_sel:DWORD src1_sel:BYTE_0
	v_lshl_or_b32 v28, v30, 4, 0x1000
	s_waitcnt vmcnt(4) lgkmcnt(3)
	v_mul_f64 v[66:67], v[38:39], v[3:4]
	v_mul_f64 v[3:4], v[36:37], v[3:4]
	s_waitcnt vmcnt(3) lgkmcnt(1)
	v_mul_f64 v[68:69], v[54:55], v[18:19]
	v_mul_f64 v[18:19], v[52:53], v[18:19]
	v_bfe_u32 v30, v15, 8, 8
	v_lshlrev_b32_sdwa v15, v13, v15 dst_sel:DWORD dst_unused:UNUSED_PAD src0_sel:DWORD src1_sel:BYTE_0
	s_waitcnt vmcnt(2)
	v_mul_f64 v[70:71], v[42:43], v[22:23]
	v_mul_f64 v[22:23], v[40:41], v[22:23]
	v_lshl_or_b32 v30, v30, 4, 0x1000
	v_fma_f64 v[60:61], v[24:25], v[9:10], -v[60:61]
	v_fma_f64 v[11:12], v[26:27], v[9:10], v[11:12]
	s_clause 0x1
	global_load_dwordx4 v[7:10], v7, s[8:9]
	global_load_dwordx4 v[24:27], v28, s[8:9]
	v_add_nc_u32_e32 v28, 42, v14
	v_fma_f64 v[62:63], v[32:33], v[5:6], -v[62:63]
	v_fma_f64 v[5:6], v[34:35], v[5:6], v[64:65]
	v_fma_f64 v[64:65], v[36:37], v[1:2], -v[66:67]
	v_fma_f64 v[66:67], v[38:39], v[1:2], v[3:4]
	v_mul_lo_u32 v28, v29, v28
	s_clause 0x1
	global_load_dwordx4 v[1:4], v15, s[8:9]
	global_load_dwordx4 v[32:35], v30, s[8:9]
	v_mul_lo_u32 v30, v29, v72
	v_fma_f64 v[54:55], v[54:55], v[16:17], v[18:19]
	v_fma_f64 v[52:53], v[52:53], v[16:17], -v[68:69]
	v_fma_f64 v[68:69], v[40:41], v[20:21], -v[70:71]
	v_fma_f64 v[70:71], v[42:43], v[20:21], v[22:23]
	v_mov_b32_e32 v23, 0x187
	v_bfe_u32 v73, v28, 8, 8
	v_lshlrev_b32_sdwa v15, v13, v28 dst_sel:DWORD dst_unused:UNUSED_PAD src0_sel:DWORD src1_sel:BYTE_0
	v_bfe_u32 v19, v30, 8, 8
	v_mul_u32_u24_sdwa v23, v0, v23 dst_sel:DWORD dst_unused:UNUSED_PAD src0_sel:WORD_0 src1_sel:DWORD
	v_lshl_or_b32 v28, v73, 4, 0x1000
	s_clause 0x1
	global_load_dwordx4 v[15:18], v15, s[8:9]
	global_load_dwordx4 v[36:39], v28, s[8:9]
	v_lshlrev_b32_sdwa v28, v13, v30 dst_sel:DWORD dst_unused:UNUSED_PAD src0_sel:DWORD src1_sel:BYTE_0
	v_lshl_or_b32 v30, v19, 4, 0x1000
	s_clause 0x1
	global_load_dwordx4 v[19:22], v28, s[8:9]
	global_load_dwordx4 v[40:43], v30, s[8:9]
	s_waitcnt vmcnt(8)
	v_mul_f64 v[72:73], v[46:47], v[50:51]
	v_mul_f64 v[50:51], v[44:45], v[50:51]
	v_lshrrev_b32_e32 v28, 17, v23
	v_fma_f64 v[44:45], v[44:45], v[48:49], -v[72:73]
	v_fma_f64 v[46:47], v[46:47], v[48:49], v[50:51]
	v_mad_u64_u32 v[48:49], null, s14, v31, 0
	v_mov_b32_e32 v0, v49
	s_waitcnt vmcnt(6)
	v_mul_f64 v[74:75], v[9:10], v[26:27]
	v_mul_f64 v[26:27], v[7:8], v[26:27]
	s_waitcnt vmcnt(4)
	v_mul_f64 v[50:51], v[3:4], v[34:35]
	v_fma_f64 v[72:73], v[7:8], v[24:25], -v[74:75]
	v_fma_f64 v[8:9], v[9:10], v[24:25], v[26:27]
	v_mul_f64 v[23:24], v[1:2], v[34:35]
	v_mad_u64_u32 v[25:26], null, s15, v31, v[0:1]
	v_mul_lo_u16 v0, 0x54, v28
	s_waitcnt vmcnt(2)
	v_mul_f64 v[26:27], v[17:18], v[38:39]
	v_mul_f64 v[30:31], v[15:16], v[38:39]
	v_fma_f64 v[34:35], v[1:2], v[32:33], -v[50:51]
	v_add_nc_u32_e32 v7, 14, v14
	v_add_nc_u32_sdwa v10, v14, v0 dst_sel:DWORD dst_unused:UNUSED_PAD src0_sel:DWORD src1_sel:WORD_0
	s_waitcnt vmcnt(0)
	v_mul_f64 v[0:1], v[21:22], v[42:43]
	v_mov_b32_e32 v49, v25
	v_mul_lo_u32 v74, v29, v7
	v_add_nc_u32_e32 v7, 14, v10
	v_add_nc_u32_e32 v75, 28, v10
	v_mad_u64_u32 v[28:29], null, s12, v10, 0
	v_add_nc_u32_e32 v76, 42, v10
	v_add_nc_u32_e32 v77, 56, v10
	;; [unrolled: 1-line block ×3, first 2 shown]
	v_mad_u64_u32 v[38:39], null, s12, v7, 0
	v_fma_f64 v[23:24], v[3:4], v[32:33], v[23:24]
	v_mul_f64 v[2:3], v[19:20], v[42:43]
	v_lshlrev_b64 v[32:33], 4, v[48:49]
	v_mad_u64_u32 v[42:43], null, s12, v75, 0
	v_fma_f64 v[14:15], v[15:16], v[36:37], -v[26:27]
	v_fma_f64 v[16:17], v[17:18], v[36:37], v[30:31]
	v_mad_u64_u32 v[25:26], null, s12, v76, 0
	v_mad_u64_u32 v[30:31], null, s12, v77, 0
	v_add_co_u32 v82, vcc_lo, s0, v32
	v_mov_b32_e32 v4, v29
	v_add_co_ci_u32_e32 v83, vcc_lo, s1, v33, vcc_lo
	v_mad_u64_u32 v[32:33], null, s12, v78, 0
	v_fma_f64 v[18:19], v[19:20], v[40:41], -v[0:1]
	v_mov_b32_e32 v0, v39
	v_mov_b32_e32 v1, v43
	v_mad_u64_u32 v[36:37], null, s13, v10, v[4:5]
	v_fma_f64 v[20:21], v[21:22], v[40:41], v[2:3]
	v_mov_b32_e32 v2, v26
	v_mov_b32_e32 v3, v31
	v_mad_u64_u32 v[26:27], null, s13, v7, v[0:1]
	v_mov_b32_e32 v0, v33
	v_mad_u64_u32 v[40:41], null, s13, v75, v[1:2]
	v_mad_u64_u32 v[48:49], null, s13, v76, v[2:3]
	;; [unrolled: 1-line block ×4, first 2 shown]
	v_add_f64 v[0:1], v[11:12], v[5:6]
	v_mov_b32_e32 v29, v36
	s_waitcnt lgkmcnt(0)
	v_add_f64 v[36:37], v[58:59], v[11:12]
	v_add_f64 v[2:3], v[60:61], v[62:63]
	v_add_f64 v[10:11], v[11:12], -v[5:6]
	s_mov_b32 s0, 0xe8584caa
	s_mov_b32 s1, 0x3febb67a
	;; [unrolled: 1-line block ×3, first 2 shown]
	v_bfe_u32 v12, v74, 8, 8
	v_lshlrev_b32_sdwa v22, v13, v74 dst_sel:DWORD dst_unused:UNUSED_PAD src0_sel:DWORD src1_sel:BYTE_0
	v_mov_b32_e32 v39, v26
	v_mov_b32_e32 v43, v40
	;; [unrolled: 1-line block ×3, first 2 shown]
	v_lshl_or_b32 v27, v12, 4, 0x1000
	v_mov_b32_e32 v33, v50
	v_fma_f64 v[0:1], v[0:1], -0.5, v[58:59]
	v_add_f64 v[58:59], v[64:65], v[52:53]
	v_add_f64 v[36:37], v[36:37], v[5:6]
	;; [unrolled: 1-line block ×3, first 2 shown]
	v_fma_f64 v[2:3], v[2:3], -0.5, v[56:57]
	v_add_f64 v[56:57], v[56:57], v[60:61]
	v_add_f64 v[60:61], v[60:61], -v[62:63]
	v_fma_f64 v[6:7], v[58:59], -0.5, v[68:69]
	v_add_f64 v[58:59], v[68:69], v[64:65]
	v_add_f64 v[64:65], v[64:65], -v[52:53]
	;; [unrolled: 3-line block ×3, first 2 shown]
	v_add_f64 v[56:57], v[56:57], v[62:63]
	v_add_f64 v[51:52], v[58:59], v[52:53]
	v_fma_f64 v[58:59], v[60:61], s[0:1], v[0:1]
	v_fma_f64 v[62:63], v[64:65], s[2:3], v[4:5]
	;; [unrolled: 1-line block ×5, first 2 shown]
	v_add_f64 v[53:54], v[68:69], v[54:55]
	v_fma_f64 v[60:61], v[60:61], s[2:3], v[0:1]
	v_fma_f64 v[68:69], v[10:11], s[0:1], v[2:3]
	;; [unrolled: 1-line block ×3, first 2 shown]
	v_add_f64 v[40:41], v[56:57], -v[51:52]
	v_add_f64 v[51:52], v[56:57], v[51:52]
	v_mul_f64 v[0:1], v[62:63], s[0:1]
	v_mul_f64 v[2:3], v[4:5], -0.5
	v_mul_f64 v[66:67], v[64:65], s[2:3]
	v_add_f64 v[55:56], v[36:37], -v[53:54]
	v_add_f64 v[36:37], v[36:37], v[53:54]
	v_fma_f64 v[12:13], v[64:65], 0.5, v[0:1]
	v_fma_f64 v[64:65], v[6:7], s[2:3], v[2:3]
	v_fma_f64 v[62:63], v[62:63], 0.5, v[66:67]
	v_mul_f64 v[66:67], v[6:7], -0.5
	v_add_f64 v[53:54], v[60:61], v[62:63]
	v_fma_f64 v[66:67], v[4:5], s[0:1], v[66:67]
	s_clause 0x1
	global_load_dwordx4 v[0:3], v22, s[8:9]
	global_load_dwordx4 v[4:7], v27, s[8:9]
	v_add_f64 v[60:61], v[60:61], -v[62:63]
	v_add_f64 v[62:63], v[68:69], v[12:13]
	v_add_f64 v[68:69], v[68:69], -v[12:13]
	v_add_f64 v[12:13], v[58:59], v[64:65]
	;; [unrolled: 2-line block ×3, first 2 shown]
	v_add_f64 v[66:67], v[10:11], -v[66:67]
	v_lshlrev_b64 v[10:11], 4, v[28:29]
	v_lshlrev_b64 v[29:30], 4, v[30:31]
	v_mul_f64 v[74:75], v[68:69], v[23:24]
	v_mul_f64 v[22:23], v[60:61], v[23:24]
	v_mul_f64 v[78:79], v[57:58], v[8:9]
	v_lshlrev_b64 v[31:32], 4, v[32:33]
	v_add_co_u32 v80, vcc_lo, v82, v10
	v_add_co_ci_u32_e32 v81, vcc_lo, v83, v11, vcc_lo
	v_mul_f64 v[70:71], v[64:65], v[20:21]
	v_mul_f64 v[20:21], v[12:13], v[20:21]
	;; [unrolled: 1-line block ×3, first 2 shown]
	s_waitcnt vmcnt(0)
	v_mul_f64 v[26:27], v[0:1], v[6:7]
	v_mul_f64 v[6:7], v[2:3], v[6:7]
	v_fma_f64 v[2:3], v[2:3], v[4:5], v[26:27]
	v_lshlrev_b64 v[27:28], 4, v[38:39]
	v_lshlrev_b64 v[38:39], 4, v[42:43]
	v_fma_f64 v[42:43], v[0:1], v[4:5], -v[6:7]
	v_mul_f64 v[0:1], v[40:41], v[16:17]
	v_mul_f64 v[4:5], v[55:56], v[16:17]
	;; [unrolled: 1-line block ×4, first 2 shown]
	v_mov_b32_e32 v26, v48
	v_add_co_u32 v27, vcc_lo, v82, v27
	v_add_co_ci_u32_e32 v28, vcc_lo, v83, v28, vcc_lo
	v_lshlrev_b64 v[25:26], 4, v[25:26]
	v_add_co_u32 v33, vcc_lo, v82, v38
	v_mul_f64 v[46:47], v[62:63], v[2:3]
	v_mul_f64 v[48:49], v[53:54], v[2:3]
	v_fma_f64 v[2:3], v[55:56], v[14:15], v[0:1]
	v_fma_f64 v[0:1], v[40:41], v[14:15], -v[4:5]
	v_fma_f64 v[6:7], v[36:37], v[44:45], v[6:7]
	v_fma_f64 v[4:5], v[51:52], v[44:45], -v[16:17]
	;; [unrolled: 2-line block ×5, first 2 shown]
	v_add_co_ci_u32_e32 v34, vcc_lo, v83, v39, vcc_lo
	v_add_co_u32 v24, vcc_lo, v82, v25
	v_add_co_ci_u32_e32 v25, vcc_lo, v83, v26, vcc_lo
	v_add_co_u32 v29, vcc_lo, v82, v29
	v_fma_f64 v[10:11], v[53:54], v[42:43], v[46:47]
	v_fma_f64 v[8:9], v[62:63], v[42:43], -v[48:49]
	v_add_co_ci_u32_e32 v30, vcc_lo, v83, v30, vcc_lo
	v_add_co_u32 v31, vcc_lo, v82, v31
	v_add_co_ci_u32_e32 v32, vcc_lo, v83, v32, vcc_lo
	global_store_dwordx4 v[80:81], v[4:7], off
	global_store_dwordx4 v[27:28], v[8:11], off
	;; [unrolled: 1-line block ×6, first 2 shown]
.LBB0_20:
	s_endpgm
	.section	.rodata,"a",@progbits
	.p2align	6, 0x0
	.amdhsa_kernel fft_rtc_fwd_len84_factors_7_2_6_wgs_336_tpt_14_dp_op_CI_CI_sbcc_twdbase8_2step_dirReg
		.amdhsa_group_segment_fixed_size 0
		.amdhsa_private_segment_fixed_size 0
		.amdhsa_kernarg_size 112
		.amdhsa_user_sgpr_count 6
		.amdhsa_user_sgpr_private_segment_buffer 1
		.amdhsa_user_sgpr_dispatch_ptr 0
		.amdhsa_user_sgpr_queue_ptr 0
		.amdhsa_user_sgpr_kernarg_segment_ptr 1
		.amdhsa_user_sgpr_dispatch_id 0
		.amdhsa_user_sgpr_flat_scratch_init 0
		.amdhsa_user_sgpr_private_segment_size 0
		.amdhsa_wavefront_size32 1
		.amdhsa_uses_dynamic_stack 0
		.amdhsa_system_sgpr_private_segment_wavefront_offset 0
		.amdhsa_system_sgpr_workgroup_id_x 1
		.amdhsa_system_sgpr_workgroup_id_y 0
		.amdhsa_system_sgpr_workgroup_id_z 0
		.amdhsa_system_sgpr_workgroup_info 0
		.amdhsa_system_vgpr_workitem_id 0
		.amdhsa_next_free_vgpr 84
		.amdhsa_next_free_sgpr 59
		.amdhsa_reserve_vcc 1
		.amdhsa_reserve_flat_scratch 0
		.amdhsa_float_round_mode_32 0
		.amdhsa_float_round_mode_16_64 0
		.amdhsa_float_denorm_mode_32 3
		.amdhsa_float_denorm_mode_16_64 3
		.amdhsa_dx10_clamp 1
		.amdhsa_ieee_mode 1
		.amdhsa_fp16_overflow 0
		.amdhsa_workgroup_processor_mode 1
		.amdhsa_memory_ordered 1
		.amdhsa_forward_progress 0
		.amdhsa_shared_vgpr_count 0
		.amdhsa_exception_fp_ieee_invalid_op 0
		.amdhsa_exception_fp_denorm_src 0
		.amdhsa_exception_fp_ieee_div_zero 0
		.amdhsa_exception_fp_ieee_overflow 0
		.amdhsa_exception_fp_ieee_underflow 0
		.amdhsa_exception_fp_ieee_inexact 0
		.amdhsa_exception_int_div_zero 0
	.end_amdhsa_kernel
	.text
.Lfunc_end0:
	.size	fft_rtc_fwd_len84_factors_7_2_6_wgs_336_tpt_14_dp_op_CI_CI_sbcc_twdbase8_2step_dirReg, .Lfunc_end0-fft_rtc_fwd_len84_factors_7_2_6_wgs_336_tpt_14_dp_op_CI_CI_sbcc_twdbase8_2step_dirReg
                                        ; -- End function
	.section	.AMDGPU.csdata,"",@progbits
; Kernel info:
; codeLenInByte = 6204
; NumSgprs: 61
; NumVgprs: 84
; ScratchSize: 0
; MemoryBound: 1
; FloatMode: 240
; IeeeMode: 1
; LDSByteSize: 0 bytes/workgroup (compile time only)
; SGPRBlocks: 7
; VGPRBlocks: 10
; NumSGPRsForWavesPerEU: 61
; NumVGPRsForWavesPerEU: 84
; Occupancy: 10
; WaveLimiterHint : 1
; COMPUTE_PGM_RSRC2:SCRATCH_EN: 0
; COMPUTE_PGM_RSRC2:USER_SGPR: 6
; COMPUTE_PGM_RSRC2:TRAP_HANDLER: 0
; COMPUTE_PGM_RSRC2:TGID_X_EN: 1
; COMPUTE_PGM_RSRC2:TGID_Y_EN: 0
; COMPUTE_PGM_RSRC2:TGID_Z_EN: 0
; COMPUTE_PGM_RSRC2:TIDIG_COMP_CNT: 0
	.text
	.p2alignl 6, 3214868480
	.fill 48, 4, 3214868480
	.type	__hip_cuid_99156944e6327f66,@object ; @__hip_cuid_99156944e6327f66
	.section	.bss,"aw",@nobits
	.globl	__hip_cuid_99156944e6327f66
__hip_cuid_99156944e6327f66:
	.byte	0                               ; 0x0
	.size	__hip_cuid_99156944e6327f66, 1

	.ident	"AMD clang version 19.0.0git (https://github.com/RadeonOpenCompute/llvm-project roc-6.4.0 25133 c7fe45cf4b819c5991fe208aaa96edf142730f1d)"
	.section	".note.GNU-stack","",@progbits
	.addrsig
	.addrsig_sym __hip_cuid_99156944e6327f66
	.amdgpu_metadata
---
amdhsa.kernels:
  - .args:
      - .actual_access:  read_only
        .address_space:  global
        .offset:         0
        .size:           8
        .value_kind:     global_buffer
      - .address_space:  global
        .offset:         8
        .size:           8
        .value_kind:     global_buffer
      - .offset:         16
        .size:           8
        .value_kind:     by_value
      - .actual_access:  read_only
        .address_space:  global
        .offset:         24
        .size:           8
        .value_kind:     global_buffer
      - .actual_access:  read_only
        .address_space:  global
        .offset:         32
        .size:           8
        .value_kind:     global_buffer
      - .actual_access:  read_only
        .address_space:  global
        .offset:         40
        .size:           8
        .value_kind:     global_buffer
      - .offset:         48
        .size:           8
        .value_kind:     by_value
      - .actual_access:  read_only
        .address_space:  global
        .offset:         56
        .size:           8
        .value_kind:     global_buffer
      - .actual_access:  read_only
        .address_space:  global
        .offset:         64
        .size:           8
        .value_kind:     global_buffer
      - .offset:         72
        .size:           4
        .value_kind:     by_value
      - .actual_access:  read_only
        .address_space:  global
        .offset:         80
        .size:           8
        .value_kind:     global_buffer
      - .actual_access:  read_only
        .address_space:  global
        .offset:         88
        .size:           8
        .value_kind:     global_buffer
      - .actual_access:  read_only
        .address_space:  global
        .offset:         96
        .size:           8
        .value_kind:     global_buffer
      - .actual_access:  write_only
        .address_space:  global
        .offset:         104
        .size:           8
        .value_kind:     global_buffer
    .group_segment_fixed_size: 0
    .kernarg_segment_align: 8
    .kernarg_segment_size: 112
    .language:       OpenCL C
    .language_version:
      - 2
      - 0
    .max_flat_workgroup_size: 336
    .name:           fft_rtc_fwd_len84_factors_7_2_6_wgs_336_tpt_14_dp_op_CI_CI_sbcc_twdbase8_2step_dirReg
    .private_segment_fixed_size: 0
    .sgpr_count:     61
    .sgpr_spill_count: 0
    .symbol:         fft_rtc_fwd_len84_factors_7_2_6_wgs_336_tpt_14_dp_op_CI_CI_sbcc_twdbase8_2step_dirReg.kd
    .uniform_work_group_size: 1
    .uses_dynamic_stack: false
    .vgpr_count:     84
    .vgpr_spill_count: 0
    .wavefront_size: 32
    .workgroup_processor_mode: 1
amdhsa.target:   amdgcn-amd-amdhsa--gfx1030
amdhsa.version:
  - 1
  - 2
...

	.end_amdgpu_metadata
